;; amdgpu-corpus repo=ROCm/rocFFT kind=compiled arch=gfx906 opt=O3
	.text
	.amdgcn_target "amdgcn-amd-amdhsa--gfx906"
	.amdhsa_code_object_version 6
	.protected	fft_rtc_fwd_len720_factors_10_3_8_3_wgs_240_tpt_120_halfLds_sp_op_CI_CI_unitstride_sbrr_R2C_dirReg ; -- Begin function fft_rtc_fwd_len720_factors_10_3_8_3_wgs_240_tpt_120_halfLds_sp_op_CI_CI_unitstride_sbrr_R2C_dirReg
	.globl	fft_rtc_fwd_len720_factors_10_3_8_3_wgs_240_tpt_120_halfLds_sp_op_CI_CI_unitstride_sbrr_R2C_dirReg
	.p2align	8
	.type	fft_rtc_fwd_len720_factors_10_3_8_3_wgs_240_tpt_120_halfLds_sp_op_CI_CI_unitstride_sbrr_R2C_dirReg,@function
fft_rtc_fwd_len720_factors_10_3_8_3_wgs_240_tpt_120_halfLds_sp_op_CI_CI_unitstride_sbrr_R2C_dirReg: ; @fft_rtc_fwd_len720_factors_10_3_8_3_wgs_240_tpt_120_halfLds_sp_op_CI_CI_unitstride_sbrr_R2C_dirReg
; %bb.0:
	s_load_dwordx4 s[8:11], s[4:5], 0x58
	s_load_dwordx4 s[12:15], s[4:5], 0x0
	;; [unrolled: 1-line block ×3, first 2 shown]
	v_mul_u32_u24_e32 v1, 0x223, v0
	v_lshrrev_b32_e32 v7, 16, v1
	v_mov_b32_e32 v3, 0
	s_waitcnt lgkmcnt(0)
	v_cmp_lt_u64_e64 s[0:1], s[14:15], 2
	v_mov_b32_e32 v1, 0
	v_lshl_add_u32 v5, s6, 1, v7
	v_mov_b32_e32 v6, v3
	s_and_b64 vcc, exec, s[0:1]
	v_mov_b32_e32 v2, 0
	s_cbranch_vccnz .LBB0_8
; %bb.1:
	s_load_dwordx2 s[0:1], s[4:5], 0x10
	s_add_u32 s2, s18, 8
	s_addc_u32 s3, s19, 0
	s_add_u32 s6, s16, 8
	v_mov_b32_e32 v1, 0
	s_addc_u32 s7, s17, 0
	v_mov_b32_e32 v2, 0
	s_waitcnt lgkmcnt(0)
	s_add_u32 s20, s0, 8
	v_mov_b32_e32 v17, v2
	s_addc_u32 s21, s1, 0
	s_mov_b64 s[22:23], 1
	v_mov_b32_e32 v16, v1
.LBB0_2:                                ; =>This Inner Loop Header: Depth=1
	s_load_dwordx2 s[24:25], s[20:21], 0x0
                                        ; implicit-def: $vgpr18_vgpr19
	s_waitcnt lgkmcnt(0)
	v_or_b32_e32 v4, s25, v6
	v_cmp_ne_u64_e32 vcc, 0, v[3:4]
	s_and_saveexec_b64 s[0:1], vcc
	s_xor_b64 s[26:27], exec, s[0:1]
	s_cbranch_execz .LBB0_4
; %bb.3:                                ;   in Loop: Header=BB0_2 Depth=1
	v_cvt_f32_u32_e32 v4, s24
	v_cvt_f32_u32_e32 v8, s25
	s_sub_u32 s0, 0, s24
	s_subb_u32 s1, 0, s25
	v_mac_f32_e32 v4, 0x4f800000, v8
	v_rcp_f32_e32 v4, v4
	v_mul_f32_e32 v4, 0x5f7ffffc, v4
	v_mul_f32_e32 v8, 0x2f800000, v4
	v_trunc_f32_e32 v8, v8
	v_mac_f32_e32 v4, 0xcf800000, v8
	v_cvt_u32_f32_e32 v8, v8
	v_cvt_u32_f32_e32 v4, v4
	v_mul_lo_u32 v9, s0, v8
	v_mul_hi_u32 v10, s0, v4
	v_mul_lo_u32 v12, s1, v4
	v_mul_lo_u32 v11, s0, v4
	v_add_u32_e32 v9, v10, v9
	v_add_u32_e32 v9, v9, v12
	v_mul_hi_u32 v10, v4, v11
	v_mul_lo_u32 v12, v4, v9
	v_mul_hi_u32 v14, v4, v9
	v_mul_hi_u32 v13, v8, v11
	v_mul_lo_u32 v11, v8, v11
	v_mul_hi_u32 v15, v8, v9
	v_add_co_u32_e32 v10, vcc, v10, v12
	v_addc_co_u32_e32 v12, vcc, 0, v14, vcc
	v_mul_lo_u32 v9, v8, v9
	v_add_co_u32_e32 v10, vcc, v10, v11
	v_addc_co_u32_e32 v10, vcc, v12, v13, vcc
	v_addc_co_u32_e32 v11, vcc, 0, v15, vcc
	v_add_co_u32_e32 v9, vcc, v10, v9
	v_addc_co_u32_e32 v10, vcc, 0, v11, vcc
	v_add_co_u32_e32 v4, vcc, v4, v9
	v_addc_co_u32_e32 v8, vcc, v8, v10, vcc
	v_mul_lo_u32 v9, s0, v8
	v_mul_hi_u32 v10, s0, v4
	v_mul_lo_u32 v11, s1, v4
	v_mul_lo_u32 v12, s0, v4
	v_add_u32_e32 v9, v10, v9
	v_add_u32_e32 v9, v9, v11
	v_mul_lo_u32 v13, v4, v9
	v_mul_hi_u32 v14, v4, v12
	v_mul_hi_u32 v15, v4, v9
	;; [unrolled: 1-line block ×3, first 2 shown]
	v_mul_lo_u32 v12, v8, v12
	v_mul_hi_u32 v10, v8, v9
	v_add_co_u32_e32 v13, vcc, v14, v13
	v_addc_co_u32_e32 v14, vcc, 0, v15, vcc
	v_mul_lo_u32 v9, v8, v9
	v_add_co_u32_e32 v12, vcc, v13, v12
	v_addc_co_u32_e32 v11, vcc, v14, v11, vcc
	v_addc_co_u32_e32 v10, vcc, 0, v10, vcc
	v_add_co_u32_e32 v9, vcc, v11, v9
	v_addc_co_u32_e32 v10, vcc, 0, v10, vcc
	v_add_co_u32_e32 v4, vcc, v4, v9
	v_addc_co_u32_e32 v10, vcc, v8, v10, vcc
	v_mad_u64_u32 v[8:9], s[0:1], v5, v10, 0
	v_mul_hi_u32 v11, v5, v4
	v_add_co_u32_e32 v12, vcc, v11, v8
	v_addc_co_u32_e32 v13, vcc, 0, v9, vcc
	v_mad_u64_u32 v[8:9], s[0:1], v6, v4, 0
	v_mad_u64_u32 v[10:11], s[0:1], v6, v10, 0
	v_add_co_u32_e32 v4, vcc, v12, v8
	v_addc_co_u32_e32 v4, vcc, v13, v9, vcc
	v_addc_co_u32_e32 v8, vcc, 0, v11, vcc
	v_add_co_u32_e32 v4, vcc, v4, v10
	v_addc_co_u32_e32 v10, vcc, 0, v8, vcc
	v_mul_lo_u32 v11, s25, v4
	v_mul_lo_u32 v12, s24, v10
	v_mad_u64_u32 v[8:9], s[0:1], s24, v4, 0
	v_add3_u32 v9, v9, v12, v11
	v_sub_u32_e32 v11, v6, v9
	v_mov_b32_e32 v12, s25
	v_sub_co_u32_e32 v8, vcc, v5, v8
	v_subb_co_u32_e64 v11, s[0:1], v11, v12, vcc
	v_subrev_co_u32_e64 v12, s[0:1], s24, v8
	v_subbrev_co_u32_e64 v11, s[0:1], 0, v11, s[0:1]
	v_cmp_le_u32_e64 s[0:1], s25, v11
	v_cndmask_b32_e64 v13, 0, -1, s[0:1]
	v_cmp_le_u32_e64 s[0:1], s24, v12
	v_cndmask_b32_e64 v12, 0, -1, s[0:1]
	v_cmp_eq_u32_e64 s[0:1], s25, v11
	v_cndmask_b32_e64 v11, v13, v12, s[0:1]
	v_add_co_u32_e64 v12, s[0:1], 2, v4
	v_addc_co_u32_e64 v13, s[0:1], 0, v10, s[0:1]
	v_add_co_u32_e64 v14, s[0:1], 1, v4
	v_addc_co_u32_e64 v15, s[0:1], 0, v10, s[0:1]
	v_subb_co_u32_e32 v9, vcc, v6, v9, vcc
	v_cmp_ne_u32_e64 s[0:1], 0, v11
	v_cmp_le_u32_e32 vcc, s25, v9
	v_cndmask_b32_e64 v11, v15, v13, s[0:1]
	v_cndmask_b32_e64 v13, 0, -1, vcc
	v_cmp_le_u32_e32 vcc, s24, v8
	v_cndmask_b32_e64 v8, 0, -1, vcc
	v_cmp_eq_u32_e32 vcc, s25, v9
	v_cndmask_b32_e32 v8, v13, v8, vcc
	v_cmp_ne_u32_e32 vcc, 0, v8
	v_cndmask_b32_e64 v8, v14, v12, s[0:1]
	v_cndmask_b32_e32 v19, v10, v11, vcc
	v_cndmask_b32_e32 v18, v4, v8, vcc
.LBB0_4:                                ;   in Loop: Header=BB0_2 Depth=1
	s_andn2_saveexec_b64 s[0:1], s[26:27]
	s_cbranch_execz .LBB0_6
; %bb.5:                                ;   in Loop: Header=BB0_2 Depth=1
	v_cvt_f32_u32_e32 v4, s24
	s_sub_i32 s26, 0, s24
	v_mov_b32_e32 v19, v3
	v_rcp_iflag_f32_e32 v4, v4
	v_mul_f32_e32 v4, 0x4f7ffffe, v4
	v_cvt_u32_f32_e32 v4, v4
	v_mul_lo_u32 v8, s26, v4
	v_mul_hi_u32 v8, v4, v8
	v_add_u32_e32 v4, v4, v8
	v_mul_hi_u32 v4, v5, v4
	v_mul_lo_u32 v8, v4, s24
	v_add_u32_e32 v9, 1, v4
	v_sub_u32_e32 v8, v5, v8
	v_subrev_u32_e32 v10, s24, v8
	v_cmp_le_u32_e32 vcc, s24, v8
	v_cndmask_b32_e32 v8, v8, v10, vcc
	v_cndmask_b32_e32 v4, v4, v9, vcc
	v_add_u32_e32 v9, 1, v4
	v_cmp_le_u32_e32 vcc, s24, v8
	v_cndmask_b32_e32 v18, v4, v9, vcc
.LBB0_6:                                ;   in Loop: Header=BB0_2 Depth=1
	s_or_b64 exec, exec, s[0:1]
	v_mul_lo_u32 v4, v19, s24
	v_mul_lo_u32 v10, v18, s25
	v_mad_u64_u32 v[8:9], s[0:1], v18, s24, 0
	s_load_dwordx2 s[0:1], s[6:7], 0x0
	s_load_dwordx2 s[24:25], s[2:3], 0x0
	v_add3_u32 v4, v9, v10, v4
	v_sub_co_u32_e32 v5, vcc, v5, v8
	v_subb_co_u32_e32 v4, vcc, v6, v4, vcc
	s_waitcnt lgkmcnt(0)
	v_mul_lo_u32 v6, s0, v4
	v_mul_lo_u32 v8, s1, v5
	v_mad_u64_u32 v[1:2], s[0:1], s0, v5, v[1:2]
	v_mul_lo_u32 v4, s24, v4
	v_mul_lo_u32 v9, s25, v5
	v_mad_u64_u32 v[16:17], s[0:1], s24, v5, v[16:17]
	s_add_u32 s22, s22, 1
	s_addc_u32 s23, s23, 0
	s_add_u32 s2, s2, 8
	v_add3_u32 v17, v9, v17, v4
	s_addc_u32 s3, s3, 0
	v_mov_b32_e32 v4, s14
	s_add_u32 s6, s6, 8
	v_mov_b32_e32 v5, s15
	s_addc_u32 s7, s7, 0
	v_cmp_ge_u64_e32 vcc, s[22:23], v[4:5]
	s_add_u32 s20, s20, 8
	v_add3_u32 v2, v8, v2, v6
	s_addc_u32 s21, s21, 0
	s_cbranch_vccnz .LBB0_9
; %bb.7:                                ;   in Loop: Header=BB0_2 Depth=1
	v_mov_b32_e32 v5, v18
	v_mov_b32_e32 v6, v19
	s_branch .LBB0_2
.LBB0_8:
	v_mov_b32_e32 v17, v2
	v_mov_b32_e32 v19, v6
	;; [unrolled: 1-line block ×4, first 2 shown]
.LBB0_9:
	s_load_dwordx2 s[2:3], s[4:5], 0x28
	s_lshl_b64 s[6:7], s[14:15], 3
	s_add_u32 s4, s18, s6
	v_and_b32_e32 v3, 1, v7
	s_addc_u32 s5, s19, s7
	s_waitcnt lgkmcnt(0)
	v_cmp_gt_u64_e64 s[0:1], s[2:3], v[18:19]
	v_cmp_le_u64_e64 s[2:3], s[2:3], v[18:19]
	v_cmp_eq_u32_e32 vcc, 1, v3
	v_mov_b32_e32 v3, 0x2d1
                                        ; implicit-def: $vgpr20
	s_and_saveexec_b64 s[14:15], s[2:3]
	s_xor_b64 s[2:3], exec, s[14:15]
; %bb.10:
	s_mov_b32 s14, 0x2222223
	v_mul_hi_u32 v1, v0, s14
	v_mul_u32_u24_e32 v1, 0x78, v1
	v_sub_u32_e32 v20, v0, v1
                                        ; implicit-def: $vgpr0
                                        ; implicit-def: $vgpr1_vgpr2
; %bb.11:
	s_or_saveexec_b64 s[2:3], s[2:3]
	v_cndmask_b32_e32 v33, 0, v3, vcc
	v_lshlrev_b32_e32 v34, 3, v33
	s_xor_b64 exec, exec, s[2:3]
	s_cbranch_execz .LBB0_13
; %bb.12:
	s_add_u32 s6, s16, s6
	s_addc_u32 s7, s17, s7
	s_load_dwordx2 s[6:7], s[6:7], 0x0
	s_mov_b32 s14, 0x2222223
	v_mul_hi_u32 v5, v0, s14
	s_waitcnt lgkmcnt(0)
	v_mul_lo_u32 v6, s7, v18
	v_mul_lo_u32 v7, s6, v19
	v_mad_u64_u32 v[3:4], s[6:7], s6, v18, 0
	v_mul_u32_u24_e32 v5, 0x78, v5
	v_sub_u32_e32 v20, v0, v5
	v_add3_u32 v4, v4, v7, v6
	v_lshlrev_b64 v[3:4], 3, v[3:4]
	v_mov_b32_e32 v0, s9
	v_add_co_u32_e32 v3, vcc, s8, v3
	v_addc_co_u32_e32 v4, vcc, v0, v4, vcc
	v_lshlrev_b64 v[0:1], 3, v[1:2]
	v_lshlrev_b32_e32 v21, 3, v20
	v_add_co_u32_e32 v0, vcc, v3, v0
	v_addc_co_u32_e32 v1, vcc, v4, v1, vcc
	v_add_co_u32_e32 v0, vcc, v0, v21
	v_addc_co_u32_e32 v1, vcc, 0, v1, vcc
	global_load_dwordx2 v[2:3], v[0:1], off
	global_load_dwordx2 v[4:5], v[0:1], off offset:960
	global_load_dwordx2 v[6:7], v[0:1], off offset:1920
	;; [unrolled: 1-line block ×3, first 2 shown]
	v_add_co_u32_e32 v10, vcc, 0x1000, v0
	v_addc_co_u32_e32 v11, vcc, 0, v1, vcc
	global_load_dwordx2 v[12:13], v[0:1], off offset:3840
	global_load_dwordx2 v[14:15], v[10:11], off offset:704
	v_add3_u32 v0, 0, v34, v21
	v_add_u32_e32 v1, 0x400, v0
	s_waitcnt vmcnt(4)
	ds_write2_b64 v0, v[2:3], v[4:5] offset1:120
	s_waitcnt vmcnt(2)
	ds_write2_b64 v1, v[6:7], v[8:9] offset0:112 offset1:232
	v_add_u32_e32 v0, 0xc00, v0
	s_waitcnt vmcnt(0)
	ds_write2_b64 v0, v[12:13], v[14:15] offset0:96 offset1:216
.LBB0_13:
	s_or_b64 exec, exec, s[2:3]
	v_lshlrev_b32_e32 v31, 3, v20
	v_add_u32_e32 v35, 0, v31
	v_add_u32_e32 v32, v35, v34
	;; [unrolled: 1-line block ×4, first 2 shown]
	s_waitcnt lgkmcnt(0)
	s_barrier
	ds_read2_b64 v[0:3], v32 offset0:72 offset1:144
	ds_read2_b64 v[4:7], v4 offset0:88 offset1:160
	v_add_u32_e32 v36, 0x800, v32
	ds_read2_b64 v[8:11], v8 offset0:120 offset1:192
	ds_read2_b64 v[12:15], v36 offset0:104 offset1:176
	ds_read_b64 v[25:26], v32 offset:5184
	v_add_u32_e32 v29, 0, v34
	s_waitcnt lgkmcnt(3)
	v_sub_f32_e32 v21, v2, v6
	v_add_u32_e32 v30, v29, v31
	ds_read_b64 v[27:28], v30
	s_waitcnt lgkmcnt(2)
	v_sub_f32_e32 v22, v10, v14
	v_add_f32_e32 v37, v21, v22
	v_sub_f32_e32 v21, v6, v2
	v_sub_f32_e32 v22, v14, v10
	v_add_f32_e32 v38, v21, v22
	v_sub_f32_e32 v21, v3, v7
	;; [unrolled: 3-line block ×4, first 2 shown]
	s_waitcnt lgkmcnt(1)
	v_sub_f32_e32 v22, v25, v8
	v_add_f32_e32 v49, v21, v22
	v_sub_f32_e32 v21, v12, v4
	v_sub_f32_e32 v22, v8, v25
	v_add_f32_e32 v50, v21, v22
	v_sub_f32_e32 v21, v5, v13
	;; [unrolled: 3-line block ×3, first 2 shown]
	v_sub_f32_e32 v22, v9, v26
	v_add_f32_e32 v52, v21, v22
	v_add_f32_e32 v21, v12, v8
	v_fma_f32 v47, -0.5, v21, v0
	v_add_f32_e32 v22, v13, v9
	v_sub_f32_e32 v59, v5, v26
	v_mov_b32_e32 v21, v47
	v_fma_f32 v53, -0.5, v22, v1
	v_fmac_f32_e32 v21, 0x3f737871, v59
	v_sub_f32_e32 v61, v13, v9
	v_sub_f32_e32 v60, v4, v25
	v_mov_b32_e32 v22, v53
	v_fmac_f32_e32 v21, 0x3f167918, v61
	v_fmac_f32_e32 v22, 0xbf737871, v60
	v_sub_f32_e32 v62, v12, v8
	v_fmac_f32_e32 v21, 0x3e9e377a, v49
	v_fmac_f32_e32 v22, 0xbf167918, v62
	v_fmac_f32_e32 v22, 0x3e9e377a, v51
	v_mul_f32_e32 v41, 0x3f4f1bbd, v21
	v_mul_f32_e32 v42, 0xbf167918, v21
	v_fmac_f32_e32 v41, 0x3f167918, v22
	v_fmac_f32_e32 v42, 0x3f4f1bbd, v22
	v_add_f32_e32 v22, v5, v26
	v_add_f32_e32 v21, v4, v25
	v_fma_f32 v58, -0.5, v22, v1
	v_fma_f32 v55, -0.5, v21, v0
	v_mov_b32_e32 v22, v58
	v_mov_b32_e32 v21, v55
	v_fmac_f32_e32 v22, 0x3f737871, v62
	v_fmac_f32_e32 v21, 0xbf737871, v61
	;; [unrolled: 1-line block ×6, first 2 shown]
	v_mul_f32_e32 v43, 0x3f737871, v22
	v_fmac_f32_e32 v43, 0x3e9e377a, v21
	v_mul_f32_e32 v44, 0xbf737871, v21
	v_add_f32_e32 v21, v6, v14
	s_waitcnt lgkmcnt(0)
	v_fma_f32 v54, -0.5, v21, v27
	v_add_f32_e32 v21, v2, v10
	v_fma_f32 v56, -0.5, v21, v27
	v_add_f32_e32 v21, v7, v15
	v_fma_f32 v64, -0.5, v21, v28
	v_add_f32_e32 v21, v3, v11
	v_fma_f32 v63, -0.5, v21, v28
	v_sub_f32_e32 v65, v3, v11
	v_mov_b32_e32 v45, v54
	v_sub_f32_e32 v66, v7, v15
	v_mov_b32_e32 v46, v56
	;; [unrolled: 2-line block ×4, first 2 shown]
	v_fmac_f32_e32 v45, 0x3f737871, v65
	v_fmac_f32_e32 v46, 0xbf737871, v66
	;; [unrolled: 1-line block ×13, first 2 shown]
	s_movk_i32 s2, 0x48
	s_mov_b32 s6, 0x3f737871
	s_mov_b32 s7, 0x3f167918
	;; [unrolled: 1-line block ×4, first 2 shown]
	v_sub_f32_e32 v23, v45, v41
	v_sub_f32_e32 v24, v48, v42
	;; [unrolled: 1-line block ×4, first 2 shown]
	v_cmp_gt_u32_e32 vcc, s2, v20
	s_barrier
	s_and_saveexec_b64 s[2:3], vcc
	s_cbranch_execz .LBB0_15
; %bb.14:
	v_mul_f32_e32 v71, 0x3e9e377a, v38
	v_mul_f32_e32 v38, 0x3f737871, v67
	;; [unrolled: 1-line block ×3, first 2 shown]
	v_add_f32_e32 v38, v64, v38
	v_mul_f32_e32 v39, 0x3e9e377a, v39
	v_mul_f32_e32 v73, 0x3f737871, v59
	v_add_f32_e32 v38, v72, v38
	v_mul_f32_e32 v74, 0x3f167918, v61
	v_add_f32_e32 v64, v39, v38
	v_sub_f32_e32 v38, v47, v73
	v_mul_f32_e32 v49, 0x3e9e377a, v49
	v_mul_f32_e32 v75, 0x3f737871, v60
	v_sub_f32_e32 v38, v38, v74
	v_mul_f32_e32 v76, 0x3f167918, v62
	v_add_f32_e32 v39, v49, v38
	v_add_f32_e32 v38, v53, v75
	v_mul_f32_e32 v68, 0x3f737871, v68
	v_mul_f32_e32 v51, 0x3e9e377a, v51
	v_add_f32_e32 v38, v76, v38
	v_add_f32_e32 v3, v28, v3
	v_mul_f32_e32 v67, 0x3f167918, v67
	v_add_f32_e32 v47, v51, v38
	v_sub_f32_e32 v51, v63, v68
	v_add_f32_e32 v3, v3, v7
	v_mul_f32_e32 v69, 0x3f737871, v65
	v_mul_f32_e32 v40, 0x3e9e377a, v40
	;; [unrolled: 1-line block ×3, first 2 shown]
	v_add_f32_e32 v51, v67, v51
	v_add_f32_e32 v3, v3, v15
	v_mul_f32_e32 v70, 0x3f167918, v66
	v_mul_f32_e32 v59, 0x3f167918, v59
	v_add_f32_e32 v51, v40, v51
	v_add_f32_e32 v40, v61, v55
	;; [unrolled: 1-line block ×4, first 2 shown]
	v_sub_f32_e32 v3, v54, v69
	v_mul_f32_e32 v37, 0x3e9e377a, v37
	v_mul_f32_e32 v50, 0x3e9e377a, v50
	v_mul_f32_e32 v62, 0x3f737871, v62
	v_sub_f32_e32 v40, v40, v59
	v_add_f32_e32 v1, v1, v13
	v_sub_f32_e32 v3, v3, v70
	v_add_f32_e32 v2, v27, v2
	v_add_f32_e32 v0, v0, v4
	v_mul_f32_e32 v66, 0x3f737871, v66
	v_mul_f32_e32 v60, 0x3f167918, v60
	v_add_f32_e32 v50, v50, v40
	v_sub_f32_e32 v40, v58, v62
	v_add_f32_e32 v1, v1, v9
	v_add_f32_e32 v15, v37, v3
	v_mul_f32_e32 v3, 0x3f4f1bbd, v39
	v_add_f32_e32 v2, v2, v6
	v_add_f32_e32 v0, v0, v12
	v_mul_f32_e32 v65, 0x3f167918, v65
	v_mul_f32_e32 v52, 0x3e9e377a, v52
	v_add_f32_e32 v40, v60, v40
	v_add_f32_e32 v13, v1, v26
	v_fma_f32 v26, v47, s7, -v3
	v_add_f32_e32 v3, v66, v56
	v_add_f32_e32 v2, v2, v14
	;; [unrolled: 1-line block ×4, first 2 shown]
	v_sub_f32_e32 v3, v3, v65
	v_add_f32_e32 v10, v2, v10
	v_add_f32_e32 v12, v0, v25
	v_mul_f32_e32 v38, 0x3f4f1bbd, v47
	v_mul_f32_e32 v40, 0x3e9e377a, v52
	v_add_f32_e32 v28, v71, v3
	v_mul_f32_e32 v3, 0x3e9e377a, v50
	v_sub_f32_e32 v0, v10, v12
	v_add_f32_e32 v10, v10, v12
	v_mul_u32_u24_e32 v12, 0x48, v20
	v_fma_f32 v49, v39, s9, -v38
	v_fma_f32 v53, v50, s8, -v40
	v_sub_f32_e32 v1, v11, v13
	v_fma_f32 v47, v52, s6, -v3
	v_add_f32_e32 v9, v48, v42
	v_add_f32_e32 v11, v11, v13
	;; [unrolled: 1-line block ×3, first 2 shown]
	v_add3_u32 v12, v35, v12, v34
	v_sub_f32_e32 v38, v64, v49
	v_sub_f32_e32 v40, v51, v53
	;; [unrolled: 1-line block ×4, first 2 shown]
	v_add_f32_e32 v3, v64, v49
	v_add_f32_e32 v5, v51, v53
	;; [unrolled: 1-line block ×6, first 2 shown]
	ds_write2_b64 v12, v[10:11], v[8:9] offset1:1
	ds_write2_b64 v12, v[6:7], v[4:5] offset0:2 offset1:3
	ds_write2_b64 v12, v[2:3], v[0:1] offset0:4 offset1:5
	;; [unrolled: 1-line block ×4, first 2 shown]
.LBB0_15:
	s_or_b64 exec, exec, s[2:3]
	s_load_dwordx2 s[2:3], s[4:5], 0x0
	s_movk_i32 s4, 0xcd
	v_mul_lo_u16_sdwa v0, v20, s4 dst_sel:DWORD dst_unused:UNUSED_PAD src0_sel:BYTE_0 src1_sel:DWORD
	v_lshrrev_b16_e32 v12, 11, v0
	v_add_u32_e32 v14, 0x78, v20
	v_mul_lo_u16_e32 v0, 10, v12
	v_sub_u16_e32 v13, v20, v0
	v_mov_b32_e32 v0, 4
	v_mul_lo_u16_sdwa v2, v14, s4 dst_sel:DWORD dst_unused:UNUSED_PAD src0_sel:BYTE_0 src1_sel:DWORD
	v_lshlrev_b32_sdwa v1, v0, v13 dst_sel:DWORD dst_unused:UNUSED_PAD src0_sel:DWORD src1_sel:BYTE_0
	v_lshrrev_b16_e32 v15, 11, v2
	s_waitcnt lgkmcnt(0)
	s_barrier
	global_load_dwordx4 v[8:11], v1, s[12:13]
	v_mul_lo_u16_e32 v1, 10, v15
	v_sub_u16_e32 v40, v14, v1
	v_lshlrev_b32_sdwa v0, v0, v40 dst_sel:DWORD dst_unused:UNUSED_PAD src0_sel:DWORD src1_sel:BYTE_0
	global_load_dwordx4 v[25:28], v0, s[12:13]
	ds_read2_b64 v[4:7], v32 offset0:120 offset1:240
	ds_read2_b64 v[36:39], v36 offset0:104 offset1:224
	ds_read_b64 v[2:3], v30
	ds_read_b64 v[0:1], v32 offset:4800
	s_movk_i32 s4, 0xf0
	v_mov_b32_e32 v41, 3
	v_mad_u32_u24 v12, v12, s4, 0
	v_mad_u32_u24 v15, v15, s4, 0
	v_lshlrev_b32_sdwa v13, v41, v13 dst_sel:DWORD dst_unused:UNUSED_PAD src0_sel:DWORD src1_sel:BYTE_0
	v_lshlrev_b32_sdwa v40, v41, v40 dst_sel:DWORD dst_unused:UNUSED_PAD src0_sel:DWORD src1_sel:BYTE_0
	v_add3_u32 v41, v12, v13, v34
	v_add3_u32 v15, v15, v40, v34
	s_movk_i32 s5, 0x5a
	v_cmp_gt_u32_e32 vcc, s5, v20
	s_waitcnt vmcnt(0) lgkmcnt(0)
	s_barrier
	v_mul_f32_e32 v12, v9, v7
	v_mul_f32_e32 v9, v9, v6
	;; [unrolled: 1-line block ×8, first 2 shown]
	v_fma_f32 v6, v8, v6, -v12
	v_fmac_f32_e32 v9, v8, v7
	v_fma_f32 v7, v10, v38, -v13
	v_fmac_f32_e32 v11, v10, v39
	;; [unrolled: 2-line block ×4, first 2 shown]
	v_add_f32_e32 v10, v6, v7
	v_sub_f32_e32 v25, v9, v11
	v_add_f32_e32 v13, v3, v9
	v_add_f32_e32 v9, v9, v11
	;; [unrolled: 1-line block ×3, first 2 shown]
	v_sub_f32_e32 v37, v26, v28
	v_add_f32_e32 v38, v5, v26
	v_add_f32_e32 v26, v26, v28
	;; [unrolled: 1-line block ×4, first 2 shown]
	v_fma_f32 v2, -0.5, v10, v2
	v_fmac_f32_e32 v3, -0.5, v9
	v_fma_f32 v4, -0.5, v36, v4
	v_fmac_f32_e32 v5, -0.5, v26
	v_sub_f32_e32 v6, v6, v7
	v_sub_f32_e32 v39, v8, v0
	v_add_f32_e32 v12, v1, v7
	v_add_f32_e32 v13, v13, v11
	;; [unrolled: 1-line block ×3, first 2 shown]
	v_mov_b32_e32 v0, v2
	v_mov_b32_e32 v1, v3
	;; [unrolled: 1-line block ×4, first 2 shown]
	v_add_f32_e32 v9, v38, v28
	v_fmac_f32_e32 v2, 0xbf5db3d7, v25
	v_fmac_f32_e32 v3, 0x3f5db3d7, v6
	;; [unrolled: 1-line block ×8, first 2 shown]
	ds_write_b64 v41, v[2:3] offset:160
	ds_write2_b64 v41, v[12:13], v[0:1] offset1:10
	ds_write2_b64 v15, v[8:9], v[10:11] offset1:10
	ds_write_b64 v15, v[4:5] offset:160
	s_waitcnt lgkmcnt(0)
	s_barrier
	s_and_saveexec_b64 s[4:5], vcc
	s_cbranch_execz .LBB0_17
; %bb.16:
	v_add_u32_e32 v4, 0x800, v32
	ds_read2_b64 v[0:3], v32 offset0:90 offset1:180
	ds_read2_b64 v[8:11], v4 offset0:14 offset1:104
	v_add_u32_e32 v4, 0xc00, v32
	ds_read2_b64 v[4:7], v4 offset0:66 offset1:156
	ds_read_b64 v[12:13], v30
	ds_read_b64 v[21:22], v32 offset:5040
	s_waitcnt lgkmcnt(2)
	v_mov_b32_e32 v24, v7
	v_mov_b32_e32 v23, v6
.LBB0_17:
	s_or_b64 exec, exec, s[4:5]
	s_waitcnt lgkmcnt(0)
	s_barrier
	s_and_saveexec_b64 s[4:5], vcc
	s_cbranch_execz .LBB0_19
; %bb.18:
	s_movk_i32 s6, 0x89
	v_mul_lo_u16_sdwa v6, v20, s6 dst_sel:DWORD dst_unused:UNUSED_PAD src0_sel:BYTE_0 src1_sel:DWORD
	v_lshrrev_b16_e32 v15, 12, v6
	v_mul_lo_u16_e32 v6, 30, v15
	v_sub_u16_e32 v44, v20, v6
	v_mov_b32_e32 v6, 7
	v_mul_u32_u24_sdwa v6, v44, v6 dst_sel:DWORD dst_unused:UNUSED_PAD src0_sel:BYTE_0 src1_sel:DWORD
	v_lshlrev_b32_e32 v45, 3, v6
	global_load_dwordx4 v[25:28], v45, s[12:13] offset:160
	global_load_dwordx4 v[36:39], v45, s[12:13] offset:192
	;; [unrolled: 1-line block ×3, first 2 shown]
	global_load_dwordx2 v[6:7], v45, s[12:13] offset:208
	s_movk_i32 s6, 0x780
	v_mad_u32_u24 v15, v15, s6, 0
	s_waitcnt vmcnt(3)
	v_mul_f32_e32 v45, v3, v28
	s_waitcnt vmcnt(2)
	v_mul_f32_e32 v46, v24, v39
	;; [unrolled: 2-line block ×3, first 2 shown]
	v_mul_f32_e32 v48, v1, v26
	v_mul_f32_e32 v26, v0, v26
	;; [unrolled: 1-line block ×7, first 2 shown]
	s_waitcnt vmcnt(0)
	v_mul_f32_e32 v51, v21, v7
	v_fmac_f32_e32 v26, v1, v25
	v_fma_f32 v1, v10, v42, -v43
	v_fmac_f32_e32 v28, v3, v27
	v_fmac_f32_e32 v39, v24, v38
	v_mul_f32_e32 v41, v9, v41
	v_mul_f32_e32 v7, v22, v7
	;; [unrolled: 1-line block ×3, first 2 shown]
	v_fma_f32 v2, v2, v27, -v45
	v_fma_f32 v23, v23, v38, -v46
	v_fmac_f32_e32 v47, v11, v42
	v_fma_f32 v0, v0, v25, -v48
	v_fma_f32 v4, v4, v36, -v49
	v_fmac_f32_e32 v50, v9, v40
	v_fmac_f32_e32 v51, v22, v6
	v_sub_f32_e32 v10, v12, v1
	v_sub_f32_e32 v1, v28, v39
	v_fma_f32 v8, v8, v40, -v41
	v_fma_f32 v6, v21, v6, -v7
	v_fmac_f32_e32 v37, v5, v36
	v_sub_f32_e32 v3, v2, v23
	v_sub_f32_e32 v5, v13, v47
	;; [unrolled: 1-line block ×7, first 2 shown]
	v_add_f32_e32 v11, v5, v3
	v_sub_f32_e32 v21, v4, v7
	v_fma_f32 v25, v0, 2.0, -v4
	v_mov_b32_e32 v0, v23
	v_add_f32_e32 v22, v9, v6
	v_fma_f32 v13, v13, 2.0, -v5
	v_fma_f32 v24, v28, 2.0, -v1
	;; [unrolled: 1-line block ×9, first 2 shown]
	v_fmac_f32_e32 v0, 0x3f3504f3, v21
	v_sub_f32_e32 v7, v13, v24
	v_sub_f32_e32 v6, v25, v6
	;; [unrolled: 1-line block ×4, first 2 shown]
	v_fma_f32 v28, v4, 2.0, -v21
	v_fma_f32 v36, v9, 2.0, -v22
	v_mov_b32_e32 v5, v27
	v_mov_b32_e32 v4, v37
	v_fmac_f32_e32 v0, 0xbf3504f3, v22
	v_mov_b32_e32 v1, v11
	v_fma_f32 v13, v13, 2.0, -v7
	v_fma_f32 v9, v12, 2.0, -v26
	;; [unrolled: 1-line block ×4, first 2 shown]
	v_fmac_f32_e32 v5, 0xbf3504f3, v36
	v_fmac_f32_e32 v4, 0xbf3504f3, v28
	v_fma_f32 v10, v23, 2.0, -v0
	v_mov_b32_e32 v23, 3
	v_fmac_f32_e32 v1, 0x3f3504f3, v22
	v_sub_f32_e32 v9, v13, v9
	v_sub_f32_e32 v8, v12, v8
	v_fmac_f32_e32 v5, 0x3f3504f3, v28
	v_fmac_f32_e32 v4, 0xbf3504f3, v36
	v_lshlrev_b32_sdwa v23, v23, v44 dst_sel:DWORD dst_unused:UNUSED_PAD src0_sel:DWORD src1_sel:BYTE_0
	v_add_f32_e32 v3, v7, v6
	v_sub_f32_e32 v2, v24, v26
	v_fmac_f32_e32 v1, 0x3f3504f3, v21
	v_fma_f32 v13, v13, 2.0, -v9
	v_fma_f32 v12, v12, 2.0, -v8
	v_fma_f32 v22, v27, 2.0, -v5
	v_fma_f32 v21, v37, 2.0, -v4
	v_add3_u32 v15, v15, v23, v34
	v_fma_f32 v7, v7, 2.0, -v3
	v_fma_f32 v6, v24, 2.0, -v2
	;; [unrolled: 1-line block ×3, first 2 shown]
	ds_write2_b64 v15, v[12:13], v[21:22] offset1:30
	ds_write2_b64 v15, v[6:7], v[10:11] offset0:60 offset1:90
	ds_write2_b64 v15, v[8:9], v[4:5] offset0:120 offset1:150
	;; [unrolled: 1-line block ×3, first 2 shown]
.LBB0_19:
	s_or_b64 exec, exec, s[4:5]
	v_lshlrev_b32_e32 v0, 1, v20
	v_mov_b32_e32 v1, 0
	v_lshlrev_b64 v[2:3], 3, v[0:1]
	v_lshlrev_b32_e32 v0, 1, v14
	v_mov_b32_e32 v8, s13
	v_add_co_u32_e32 v2, vcc, s12, v2
	v_lshlrev_b64 v[6:7], 3, v[0:1]
	v_addc_co_u32_e32 v3, vcc, v8, v3, vcc
	v_add_co_u32_e32 v6, vcc, s12, v6
	s_waitcnt lgkmcnt(0)
	s_barrier
	global_load_dwordx4 v[2:5], v[2:3], off offset:1840
	v_addc_co_u32_e32 v7, vcc, v8, v7, vcc
	global_load_dwordx4 v[6:9], v[6:7], off offset:1840
	v_add_u32_e32 v21, 0x800, v32
	ds_read2_b64 v[10:13], v32 offset0:120 offset1:240
	ds_read_b64 v[14:15], v30
	ds_read_b64 v[25:26], v32 offset:4800
	ds_read2_b64 v[21:24], v21 offset0:104 offset1:224
	v_lshl_add_u32 v0, v33, 3, v35
	v_add_u32_e32 v27, 0x780, v32
	v_add_u32_e32 v0, 0xb00, v0
	s_waitcnt vmcnt(0) lgkmcnt(0)
	s_barrier
	s_add_u32 s6, s12, 0x1630
	s_addc_u32 s7, s13, 0
	v_cmp_ne_u32_e32 vcc, 0, v20
	v_mul_f32_e32 v28, v3, v13
	v_mul_f32_e32 v3, v3, v12
	;; [unrolled: 1-line block ×4, first 2 shown]
	v_fma_f32 v12, v2, v12, -v28
	v_fmac_f32_e32 v3, v2, v13
	v_fma_f32 v2, v4, v23, -v33
	v_fmac_f32_e32 v5, v4, v24
	v_mul_f32_e32 v4, v7, v22
	v_mul_f32_e32 v7, v7, v21
	;; [unrolled: 1-line block ×4, first 2 shown]
	v_fma_f32 v4, v6, v21, -v4
	v_fmac_f32_e32 v7, v6, v22
	v_fma_f32 v6, v8, v25, -v13
	v_fmac_f32_e32 v9, v8, v26
	v_add_f32_e32 v13, v12, v2
	v_add_f32_e32 v23, v3, v5
	;; [unrolled: 1-line block ×4, first 2 shown]
	v_fma_f32 v14, -0.5, v13, v14
	v_fmac_f32_e32 v15, -0.5, v23
	v_add_f32_e32 v13, v4, v6
	v_add_f32_e32 v24, v7, v9
	v_sub_f32_e32 v21, v3, v5
	v_sub_f32_e32 v12, v12, v2
	v_add_f32_e32 v2, v8, v2
	v_add_f32_e32 v3, v22, v5
	;; [unrolled: 1-line block ×4, first 2 shown]
	v_sub_f32_e32 v25, v4, v6
	v_mov_b32_e32 v4, v14
	v_mov_b32_e32 v5, v15
	v_fma_f32 v10, -0.5, v13, v10
	v_fmac_f32_e32 v11, -0.5, v24
	v_sub_f32_e32 v22, v7, v9
	v_fmac_f32_e32 v14, 0xbf5db3d7, v21
	v_fmac_f32_e32 v15, 0x3f5db3d7, v12
	v_add_f32_e32 v6, v8, v6
	v_add_f32_e32 v7, v23, v9
	v_fmac_f32_e32 v4, 0x3f5db3d7, v21
	v_fmac_f32_e32 v5, 0xbf5db3d7, v12
	v_mov_b32_e32 v8, v10
	v_mov_b32_e32 v9, v11
	v_fmac_f32_e32 v10, 0xbf5db3d7, v22
	v_fmac_f32_e32 v11, 0x3f5db3d7, v25
	ds_write2_b64 v32, v[2:3], v[6:7] offset1:120
	v_fmac_f32_e32 v8, 0x3f5db3d7, v22
	v_fmac_f32_e32 v9, 0xbf5db3d7, v25
	ds_write2_b64 v27, v[4:5], v[14:15] offset1:240
	ds_write2_b64 v0, v[8:9], v[10:11] offset0:8 offset1:248
	s_waitcnt lgkmcnt(0)
	s_barrier
	ds_read_b64 v[2:3], v30
	v_sub_u32_e32 v6, v29, v31
                                        ; implicit-def: $vgpr0
                                        ; implicit-def: $vgpr7
                                        ; implicit-def: $vgpr8
                                        ; implicit-def: $vgpr4_vgpr5
	s_and_saveexec_b64 s[4:5], vcc
	s_xor_b64 s[4:5], exec, s[4:5]
	s_cbranch_execz .LBB0_21
; %bb.20:
	v_mov_b32_e32 v21, v1
	v_lshlrev_b64 v[0:1], 3, v[20:21]
	v_mov_b32_e32 v4, s7
	v_add_co_u32_e32 v0, vcc, s6, v0
	v_addc_co_u32_e32 v1, vcc, v4, v1, vcc
	global_load_dwordx2 v[0:1], v[0:1], off
	ds_read_b64 v[4:5], v6 offset:5760
	s_waitcnt lgkmcnt(0)
	v_add_f32_e32 v9, v4, v2
	v_sub_f32_e32 v2, v2, v4
	v_add_f32_e32 v7, v5, v3
	v_sub_f32_e32 v3, v3, v5
	v_mul_f32_e32 v2, 0.5, v2
	v_mul_f32_e32 v4, 0.5, v7
	;; [unrolled: 1-line block ×3, first 2 shown]
	s_waitcnt vmcnt(0)
	v_mul_f32_e32 v5, v1, v2
	v_fma_f32 v8, v4, v1, v3
	v_fma_f32 v1, v4, v1, -v3
	v_fma_f32 v7, 0.5, v9, v5
	v_fma_f32 v3, v9, 0.5, -v5
	v_fma_f32 v8, -v0, v2, v8
	v_fma_f32 v1, -v0, v2, v1
	v_fmac_f32_e32 v7, v0, v4
	v_fma_f32 v0, -v0, v4, v3
	v_mov_b32_e32 v4, v20
	v_mov_b32_e32 v5, v21
                                        ; implicit-def: $vgpr2_vgpr3
.LBB0_21:
	s_andn2_saveexec_b64 s[4:5], s[4:5]
	s_cbranch_execz .LBB0_23
; %bb.22:
	ds_read_b32 v1, v29 offset:2884
	v_mov_b32_e32 v4, 0
	s_waitcnt lgkmcnt(1)
	v_add_f32_e32 v7, v2, v3
	v_sub_f32_e32 v0, v2, v3
	v_mov_b32_e32 v5, 0
	s_waitcnt lgkmcnt(0)
	v_xor_b32_e32 v1, 0x80000000, v1
	v_mov_b32_e32 v8, 0
	ds_write_b32 v29, v1 offset:2884
	v_mov_b32_e32 v1, 0
.LBB0_23:
	s_or_b64 exec, exec, s[4:5]
	s_waitcnt lgkmcnt(0)
	v_lshlrev_b64 v[2:3], 3, v[4:5]
	v_mov_b32_e32 v4, s7
	v_add_co_u32_e32 v2, vcc, s6, v2
	v_addc_co_u32_e32 v3, vcc, v4, v3, vcc
	global_load_dwordx2 v[4:5], v[2:3], off offset:960
	global_load_dwordx2 v[9:10], v[2:3], off offset:1920
	ds_write2_b32 v30, v7, v8 offset1:1
	ds_write_b64 v6, v[0:1] offset:5760
	ds_read_b64 v[0:1], v30 offset:960
	ds_read_b64 v[2:3], v6 offset:4800
	s_waitcnt lgkmcnt(0)
	v_add_f32_e32 v7, v0, v2
	v_sub_f32_e32 v0, v0, v2
	v_add_f32_e32 v8, v1, v3
	v_sub_f32_e32 v1, v1, v3
	v_mul_f32_e32 v0, 0.5, v0
	v_mul_f32_e32 v2, 0.5, v8
	;; [unrolled: 1-line block ×3, first 2 shown]
	s_waitcnt vmcnt(1)
	v_mul_f32_e32 v3, v5, v0
	v_fma_f32 v8, v2, v5, v1
	v_fma_f32 v1, v2, v5, -v1
	v_fma_f32 v5, 0.5, v7, v3
	v_fma_f32 v8, -v4, v0, v8
	v_fma_f32 v3, v7, 0.5, -v3
	v_fmac_f32_e32 v5, v4, v2
	v_fma_f32 v1, -v4, v0, v1
	v_fma_f32 v0, -v4, v2, v3
	ds_write2_b32 v30, v5, v8 offset0:240 offset1:241
	ds_write_b64 v6, v[0:1] offset:4800
	ds_read_b64 v[0:1], v30 offset:1920
	ds_read_b64 v[2:3], v6 offset:3840
	v_add_u32_e32 v4, 0x400, v30
	s_waitcnt lgkmcnt(0)
	v_add_f32_e32 v5, v0, v2
	v_sub_f32_e32 v0, v0, v2
	v_add_f32_e32 v7, v1, v3
	v_sub_f32_e32 v1, v1, v3
	v_mul_f32_e32 v0, 0.5, v0
	v_mul_f32_e32 v2, 0.5, v7
	;; [unrolled: 1-line block ×3, first 2 shown]
	s_waitcnt vmcnt(0)
	v_mul_f32_e32 v3, v10, v0
	v_fma_f32 v7, v2, v10, v1
	v_fma_f32 v8, 0.5, v5, v3
	v_fma_f32 v1, v2, v10, -v1
	v_fma_f32 v7, -v9, v0, v7
	v_fma_f32 v3, v5, 0.5, -v3
	v_fmac_f32_e32 v8, v9, v2
	v_fma_f32 v1, -v9, v0, v1
	v_fma_f32 v0, -v9, v2, v3
	ds_write2_b32 v4, v8, v7 offset0:224 offset1:225
	ds_write_b64 v6, v[0:1] offset:3840
	s_waitcnt lgkmcnt(0)
	s_barrier
	s_and_saveexec_b64 s[4:5], s[0:1]
	s_cbranch_execz .LBB0_26
; %bb.24:
	v_mul_lo_u32 v0, s3, v18
	v_mul_lo_u32 v3, s2, v19
	v_mad_u64_u32 v[1:2], s[0:1], s2, v18, 0
	v_mov_b32_e32 v7, s11
	v_mov_b32_e32 v21, 0
	v_add3_u32 v2, v2, v3, v0
	v_lshlrev_b64 v[1:2], 3, v[1:2]
	v_lshl_add_u32 v0, v20, 3, v29
	v_add_co_u32_e32 v1, vcc, s10, v1
	v_addc_co_u32_e32 v9, vcc, v7, v2, vcc
	v_lshlrev_b64 v[7:8], 3, v[16:17]
	ds_read2_b64 v[3:6], v0 offset1:120
	v_add_co_u32_e32 v2, vcc, v1, v7
	v_addc_co_u32_e32 v1, vcc, v9, v8, vcc
	v_lshlrev_b64 v[7:8], 3, v[20:21]
	s_movk_i32 s0, 0x77
	v_add_co_u32_e32 v7, vcc, v2, v7
	v_addc_co_u32_e32 v8, vcc, v1, v8, vcc
	s_waitcnt lgkmcnt(0)
	global_store_dwordx2 v[7:8], v[3:4], off
	v_add_u32_e32 v3, 0x78, v20
	v_mov_b32_e32 v4, v21
	v_lshlrev_b64 v[3:4], 3, v[3:4]
	v_add_u32_e32 v7, 0xf0, v20
	v_add_co_u32_e32 v3, vcc, v2, v3
	v_addc_co_u32_e32 v4, vcc, v1, v4, vcc
	global_store_dwordx2 v[3:4], v[5:6], off
	v_add_u32_e32 v3, 0x400, v0
	v_mov_b32_e32 v8, v21
	ds_read2_b64 v[3:6], v3 offset0:112 offset1:232
	v_lshlrev_b64 v[7:8], 3, v[7:8]
	v_add_co_u32_e32 v7, vcc, v2, v7
	v_addc_co_u32_e32 v8, vcc, v1, v8, vcc
	s_waitcnt lgkmcnt(0)
	global_store_dwordx2 v[7:8], v[3:4], off
	v_add_u32_e32 v3, 0x168, v20
	v_mov_b32_e32 v4, v21
	v_lshlrev_b64 v[3:4], 3, v[3:4]
	v_add_u32_e32 v7, 0x1e0, v20
	v_add_co_u32_e32 v3, vcc, v2, v3
	v_addc_co_u32_e32 v4, vcc, v1, v4, vcc
	global_store_dwordx2 v[3:4], v[5:6], off
	v_add_u32_e32 v3, 0xc00, v0
	v_mov_b32_e32 v8, v21
	ds_read2_b64 v[3:6], v3 offset0:96 offset1:216
	v_lshlrev_b64 v[7:8], 3, v[7:8]
	v_add_co_u32_e32 v7, vcc, v2, v7
	v_addc_co_u32_e32 v8, vcc, v1, v8, vcc
	s_waitcnt lgkmcnt(0)
	global_store_dwordx2 v[7:8], v[3:4], off
	v_add_u32_e32 v3, 0x258, v20
	v_mov_b32_e32 v4, v21
	v_lshlrev_b64 v[3:4], 3, v[3:4]
	v_add_co_u32_e32 v3, vcc, v2, v3
	v_addc_co_u32_e32 v4, vcc, v1, v4, vcc
	v_cmp_eq_u32_e32 vcc, s0, v20
	global_store_dwordx2 v[3:4], v[5:6], off
	s_and_b64 exec, exec, vcc
	s_cbranch_execz .LBB0_26
; %bb.25:
	ds_read_b64 v[3:4], v0 offset:4808
	v_add_co_u32_e32 v0, vcc, 0x1000, v2
	v_addc_co_u32_e32 v1, vcc, 0, v1, vcc
	s_waitcnt lgkmcnt(0)
	global_store_dwordx2 v[0:1], v[3:4], off offset:1664
.LBB0_26:
	s_endpgm
	.section	.rodata,"a",@progbits
	.p2align	6, 0x0
	.amdhsa_kernel fft_rtc_fwd_len720_factors_10_3_8_3_wgs_240_tpt_120_halfLds_sp_op_CI_CI_unitstride_sbrr_R2C_dirReg
		.amdhsa_group_segment_fixed_size 0
		.amdhsa_private_segment_fixed_size 0
		.amdhsa_kernarg_size 104
		.amdhsa_user_sgpr_count 6
		.amdhsa_user_sgpr_private_segment_buffer 1
		.amdhsa_user_sgpr_dispatch_ptr 0
		.amdhsa_user_sgpr_queue_ptr 0
		.amdhsa_user_sgpr_kernarg_segment_ptr 1
		.amdhsa_user_sgpr_dispatch_id 0
		.amdhsa_user_sgpr_flat_scratch_init 0
		.amdhsa_user_sgpr_private_segment_size 0
		.amdhsa_uses_dynamic_stack 0
		.amdhsa_system_sgpr_private_segment_wavefront_offset 0
		.amdhsa_system_sgpr_workgroup_id_x 1
		.amdhsa_system_sgpr_workgroup_id_y 0
		.amdhsa_system_sgpr_workgroup_id_z 0
		.amdhsa_system_sgpr_workgroup_info 0
		.amdhsa_system_vgpr_workitem_id 0
		.amdhsa_next_free_vgpr 77
		.amdhsa_next_free_sgpr 28
		.amdhsa_reserve_vcc 1
		.amdhsa_reserve_flat_scratch 0
		.amdhsa_float_round_mode_32 0
		.amdhsa_float_round_mode_16_64 0
		.amdhsa_float_denorm_mode_32 3
		.amdhsa_float_denorm_mode_16_64 3
		.amdhsa_dx10_clamp 1
		.amdhsa_ieee_mode 1
		.amdhsa_fp16_overflow 0
		.amdhsa_exception_fp_ieee_invalid_op 0
		.amdhsa_exception_fp_denorm_src 0
		.amdhsa_exception_fp_ieee_div_zero 0
		.amdhsa_exception_fp_ieee_overflow 0
		.amdhsa_exception_fp_ieee_underflow 0
		.amdhsa_exception_fp_ieee_inexact 0
		.amdhsa_exception_int_div_zero 0
	.end_amdhsa_kernel
	.text
.Lfunc_end0:
	.size	fft_rtc_fwd_len720_factors_10_3_8_3_wgs_240_tpt_120_halfLds_sp_op_CI_CI_unitstride_sbrr_R2C_dirReg, .Lfunc_end0-fft_rtc_fwd_len720_factors_10_3_8_3_wgs_240_tpt_120_halfLds_sp_op_CI_CI_unitstride_sbrr_R2C_dirReg
                                        ; -- End function
	.section	.AMDGPU.csdata,"",@progbits
; Kernel info:
; codeLenInByte = 5340
; NumSgprs: 32
; NumVgprs: 77
; ScratchSize: 0
; MemoryBound: 0
; FloatMode: 240
; IeeeMode: 1
; LDSByteSize: 0 bytes/workgroup (compile time only)
; SGPRBlocks: 3
; VGPRBlocks: 19
; NumSGPRsForWavesPerEU: 32
; NumVGPRsForWavesPerEU: 77
; Occupancy: 3
; WaveLimiterHint : 1
; COMPUTE_PGM_RSRC2:SCRATCH_EN: 0
; COMPUTE_PGM_RSRC2:USER_SGPR: 6
; COMPUTE_PGM_RSRC2:TRAP_HANDLER: 0
; COMPUTE_PGM_RSRC2:TGID_X_EN: 1
; COMPUTE_PGM_RSRC2:TGID_Y_EN: 0
; COMPUTE_PGM_RSRC2:TGID_Z_EN: 0
; COMPUTE_PGM_RSRC2:TIDIG_COMP_CNT: 0
	.type	__hip_cuid_2786a999f8b61e7d,@object ; @__hip_cuid_2786a999f8b61e7d
	.section	.bss,"aw",@nobits
	.globl	__hip_cuid_2786a999f8b61e7d
__hip_cuid_2786a999f8b61e7d:
	.byte	0                               ; 0x0
	.size	__hip_cuid_2786a999f8b61e7d, 1

	.ident	"AMD clang version 19.0.0git (https://github.com/RadeonOpenCompute/llvm-project roc-6.4.0 25133 c7fe45cf4b819c5991fe208aaa96edf142730f1d)"
	.section	".note.GNU-stack","",@progbits
	.addrsig
	.addrsig_sym __hip_cuid_2786a999f8b61e7d
	.amdgpu_metadata
---
amdhsa.kernels:
  - .args:
      - .actual_access:  read_only
        .address_space:  global
        .offset:         0
        .size:           8
        .value_kind:     global_buffer
      - .offset:         8
        .size:           8
        .value_kind:     by_value
      - .actual_access:  read_only
        .address_space:  global
        .offset:         16
        .size:           8
        .value_kind:     global_buffer
      - .actual_access:  read_only
        .address_space:  global
        .offset:         24
        .size:           8
        .value_kind:     global_buffer
      - .actual_access:  read_only
        .address_space:  global
        .offset:         32
        .size:           8
        .value_kind:     global_buffer
      - .offset:         40
        .size:           8
        .value_kind:     by_value
      - .actual_access:  read_only
        .address_space:  global
        .offset:         48
        .size:           8
        .value_kind:     global_buffer
      - .actual_access:  read_only
        .address_space:  global
        .offset:         56
        .size:           8
        .value_kind:     global_buffer
      - .offset:         64
        .size:           4
        .value_kind:     by_value
      - .actual_access:  read_only
        .address_space:  global
        .offset:         72
        .size:           8
        .value_kind:     global_buffer
      - .actual_access:  read_only
        .address_space:  global
        .offset:         80
        .size:           8
        .value_kind:     global_buffer
      - .actual_access:  read_only
        .address_space:  global
        .offset:         88
        .size:           8
        .value_kind:     global_buffer
      - .actual_access:  write_only
        .address_space:  global
        .offset:         96
        .size:           8
        .value_kind:     global_buffer
    .group_segment_fixed_size: 0
    .kernarg_segment_align: 8
    .kernarg_segment_size: 104
    .language:       OpenCL C
    .language_version:
      - 2
      - 0
    .max_flat_workgroup_size: 240
    .name:           fft_rtc_fwd_len720_factors_10_3_8_3_wgs_240_tpt_120_halfLds_sp_op_CI_CI_unitstride_sbrr_R2C_dirReg
    .private_segment_fixed_size: 0
    .sgpr_count:     32
    .sgpr_spill_count: 0
    .symbol:         fft_rtc_fwd_len720_factors_10_3_8_3_wgs_240_tpt_120_halfLds_sp_op_CI_CI_unitstride_sbrr_R2C_dirReg.kd
    .uniform_work_group_size: 1
    .uses_dynamic_stack: false
    .vgpr_count:     77
    .vgpr_spill_count: 0
    .wavefront_size: 64
amdhsa.target:   amdgcn-amd-amdhsa--gfx906
amdhsa.version:
  - 1
  - 2
...

	.end_amdgpu_metadata
